;; amdgpu-corpus repo=ROCm/rocFFT kind=compiled arch=gfx950 opt=O3
	.text
	.amdgcn_target "amdgcn-amd-amdhsa--gfx950"
	.amdhsa_code_object_version 6
	.protected	fft_rtc_back_len72_factors_8_3_3_wgs_63_tpt_9_halfLds_half_op_CI_CI_unitstride_sbrr_C2R_dirReg ; -- Begin function fft_rtc_back_len72_factors_8_3_3_wgs_63_tpt_9_halfLds_half_op_CI_CI_unitstride_sbrr_C2R_dirReg
	.globl	fft_rtc_back_len72_factors_8_3_3_wgs_63_tpt_9_halfLds_half_op_CI_CI_unitstride_sbrr_C2R_dirReg
	.p2align	8
	.type	fft_rtc_back_len72_factors_8_3_3_wgs_63_tpt_9_halfLds_half_op_CI_CI_unitstride_sbrr_C2R_dirReg,@function
fft_rtc_back_len72_factors_8_3_3_wgs_63_tpt_9_halfLds_half_op_CI_CI_unitstride_sbrr_C2R_dirReg: ; @fft_rtc_back_len72_factors_8_3_3_wgs_63_tpt_9_halfLds_half_op_CI_CI_unitstride_sbrr_C2R_dirReg
; %bb.0:
	s_load_dwordx4 s[4:7], s[0:1], 0x58
	s_load_dwordx4 s[8:11], s[0:1], 0x0
	;; [unrolled: 1-line block ×3, first 2 shown]
	v_mul_u32_u24_e32 v1, 0x1c72, v0
	v_lshrrev_b32_e32 v2, 16, v1
	v_mad_u64_u32 v[6:7], s[2:3], s2, 7, v[2:3]
	v_mov_b32_e32 v10, 0
	v_mov_b32_e32 v7, v10
	s_waitcnt lgkmcnt(0)
	v_cmp_lt_u64_e64 s[2:3], s[10:11], 2
	v_mov_b64_e32 v[8:9], 0
	s_and_b64 vcc, exec, s[2:3]
	v_mov_b64_e32 v[2:3], v[8:9]
	v_mov_b64_e32 v[4:5], v[6:7]
	s_cbranch_vccnz .LBB0_8
; %bb.1:
	s_load_dwordx2 s[2:3], s[0:1], 0x10
	s_add_u32 s16, s14, 8
	s_addc_u32 s17, s15, 0
	s_add_u32 s18, s12, 8
	s_addc_u32 s19, s13, 0
	s_waitcnt lgkmcnt(0)
	s_add_u32 s20, s2, 8
	v_mov_b64_e32 v[8:9], 0
	s_addc_u32 s21, s3, 0
	s_mov_b64 s[22:23], 1
	v_mov_b64_e32 v[2:3], v[8:9]
	v_mov_b64_e32 v[12:13], v[6:7]
.LBB0_2:                                ; =>This Inner Loop Header: Depth=1
	s_load_dwordx2 s[24:25], s[20:21], 0x0
                                        ; implicit-def: $vgpr4_vgpr5
	s_waitcnt lgkmcnt(0)
	v_or_b32_e32 v11, s25, v13
	v_cmp_ne_u64_e32 vcc, 0, v[10:11]
	s_and_saveexec_b64 s[2:3], vcc
	s_xor_b64 s[26:27], exec, s[2:3]
	s_cbranch_execz .LBB0_4
; %bb.3:                                ;   in Loop: Header=BB0_2 Depth=1
	v_cvt_f32_u32_e32 v1, s24
	v_cvt_f32_u32_e32 v4, s25
	s_sub_u32 s2, 0, s24
	s_subb_u32 s3, 0, s25
	v_fmac_f32_e32 v1, 0x4f800000, v4
	v_rcp_f32_e32 v1, v1
	s_nop 0
	v_mul_f32_e32 v1, 0x5f7ffffc, v1
	v_mul_f32_e32 v4, 0x2f800000, v1
	v_trunc_f32_e32 v4, v4
	v_fmac_f32_e32 v1, 0xcf800000, v4
	v_cvt_u32_f32_e32 v7, v4
	v_cvt_u32_f32_e32 v1, v1
	v_mul_lo_u32 v4, s2, v7
	v_mul_hi_u32 v11, s2, v1
	v_mul_lo_u32 v5, s3, v1
	v_add_u32_e32 v11, v11, v4
	v_mul_lo_u32 v16, s2, v1
	v_add_u32_e32 v11, v11, v5
	v_mul_hi_u32 v4, v1, v16
	v_mul_hi_u32 v15, v1, v11
	v_mul_lo_u32 v14, v1, v11
	v_mov_b32_e32 v5, v10
	v_lshl_add_u64 v[4:5], v[4:5], 0, v[14:15]
	v_mul_hi_u32 v15, v7, v16
	v_mul_lo_u32 v16, v7, v16
	v_add_co_u32_e32 v4, vcc, v4, v16
	v_mul_hi_u32 v14, v7, v11
	s_nop 0
	v_addc_co_u32_e32 v4, vcc, v5, v15, vcc
	v_mov_b32_e32 v5, v10
	s_nop 0
	v_addc_co_u32_e32 v15, vcc, 0, v14, vcc
	v_mul_lo_u32 v14, v7, v11
	v_lshl_add_u64 v[4:5], v[4:5], 0, v[14:15]
	v_add_co_u32_e32 v1, vcc, v1, v4
	v_mul_lo_u32 v14, s2, v1
	s_nop 0
	v_addc_co_u32_e32 v7, vcc, v7, v5, vcc
	v_mul_lo_u32 v4, s2, v7
	v_mul_hi_u32 v5, s2, v1
	v_add_u32_e32 v4, v5, v4
	v_mul_lo_u32 v5, s3, v1
	v_add_u32_e32 v11, v4, v5
	v_mul_hi_u32 v17, v7, v14
	v_mul_lo_u32 v18, v7, v14
	v_mul_hi_u32 v5, v1, v11
	v_mul_lo_u32 v4, v1, v11
	v_mul_hi_u32 v14, v1, v14
	v_mov_b32_e32 v15, v10
	v_lshl_add_u64 v[4:5], v[14:15], 0, v[4:5]
	v_add_co_u32_e32 v4, vcc, v4, v18
	v_mul_hi_u32 v16, v7, v11
	s_nop 0
	v_addc_co_u32_e32 v4, vcc, v5, v17, vcc
	v_mul_lo_u32 v14, v7, v11
	s_nop 0
	v_addc_co_u32_e32 v15, vcc, 0, v16, vcc
	v_mov_b32_e32 v5, v10
	v_lshl_add_u64 v[4:5], v[4:5], 0, v[14:15]
	v_add_co_u32_e32 v1, vcc, v1, v4
	v_mul_hi_u32 v14, v12, v1
	s_nop 0
	v_addc_co_u32_e32 v7, vcc, v7, v5, vcc
	v_mad_u64_u32 v[4:5], s[2:3], v12, v7, 0
	v_mov_b32_e32 v15, v10
	v_lshl_add_u64 v[4:5], v[14:15], 0, v[4:5]
	v_mad_u64_u32 v[16:17], s[2:3], v13, v1, 0
	v_add_co_u32_e32 v1, vcc, v4, v16
	v_mad_u64_u32 v[14:15], s[2:3], v13, v7, 0
	s_nop 0
	v_addc_co_u32_e32 v4, vcc, v5, v17, vcc
	v_mov_b32_e32 v5, v10
	s_nop 0
	v_addc_co_u32_e32 v15, vcc, 0, v15, vcc
	v_lshl_add_u64 v[4:5], v[4:5], 0, v[14:15]
	v_mul_lo_u32 v1, s25, v4
	v_mul_lo_u32 v7, s24, v5
	v_mad_u64_u32 v[14:15], s[2:3], s24, v4, 0
	v_add3_u32 v1, v15, v7, v1
	v_sub_u32_e32 v7, v13, v1
	v_mov_b32_e32 v11, s25
	v_sub_co_u32_e32 v18, vcc, v12, v14
	v_lshl_add_u64 v[16:17], v[4:5], 0, 1
	s_nop 0
	v_subb_co_u32_e64 v7, s[2:3], v7, v11, vcc
	v_subrev_co_u32_e64 v11, s[2:3], s24, v18
	v_subb_co_u32_e32 v1, vcc, v13, v1, vcc
	s_nop 0
	v_subbrev_co_u32_e64 v7, s[2:3], 0, v7, s[2:3]
	v_cmp_le_u32_e64 s[2:3], s25, v7
	v_cmp_le_u32_e32 vcc, s25, v1
	s_nop 0
	v_cndmask_b32_e64 v14, 0, -1, s[2:3]
	v_cmp_le_u32_e64 s[2:3], s24, v11
	s_nop 1
	v_cndmask_b32_e64 v11, 0, -1, s[2:3]
	v_cmp_eq_u32_e64 s[2:3], s25, v7
	s_nop 1
	v_cndmask_b32_e64 v7, v14, v11, s[2:3]
	v_lshl_add_u64 v[14:15], v[4:5], 0, 2
	v_cmp_ne_u32_e64 s[2:3], 0, v7
	v_cndmask_b32_e64 v11, 0, -1, vcc
	v_cmp_le_u32_e32 vcc, s24, v18
	v_cndmask_b32_e64 v7, v17, v15, s[2:3]
	s_nop 0
	v_cndmask_b32_e64 v15, 0, -1, vcc
	v_cmp_eq_u32_e32 vcc, s25, v1
	s_nop 1
	v_cndmask_b32_e32 v1, v11, v15, vcc
	v_cmp_ne_u32_e32 vcc, 0, v1
	v_cndmask_b32_e64 v1, v16, v14, s[2:3]
	s_nop 0
	v_cndmask_b32_e32 v5, v5, v7, vcc
	v_cndmask_b32_e32 v4, v4, v1, vcc
.LBB0_4:                                ;   in Loop: Header=BB0_2 Depth=1
	s_andn2_saveexec_b64 s[2:3], s[26:27]
	s_cbranch_execz .LBB0_6
; %bb.5:                                ;   in Loop: Header=BB0_2 Depth=1
	v_cvt_f32_u32_e32 v1, s24
	s_sub_i32 s26, 0, s24
	v_rcp_iflag_f32_e32 v1, v1
	s_nop 0
	v_mul_f32_e32 v1, 0x4f7ffffe, v1
	v_cvt_u32_f32_e32 v1, v1
	v_mul_lo_u32 v4, s26, v1
	v_mul_hi_u32 v4, v1, v4
	v_add_u32_e32 v1, v1, v4
	v_mul_hi_u32 v1, v12, v1
	v_mul_lo_u32 v4, v1, s24
	v_sub_u32_e32 v4, v12, v4
	v_add_u32_e32 v5, 1, v1
	v_subrev_u32_e32 v7, s24, v4
	v_cmp_le_u32_e32 vcc, s24, v4
	s_nop 1
	v_cndmask_b32_e32 v4, v4, v7, vcc
	v_cndmask_b32_e32 v1, v1, v5, vcc
	v_add_u32_e32 v5, 1, v1
	v_cmp_le_u32_e32 vcc, s24, v4
	s_nop 1
	v_cndmask_b32_e32 v4, v1, v5, vcc
	v_mov_b32_e32 v5, v10
.LBB0_6:                                ;   in Loop: Header=BB0_2 Depth=1
	s_or_b64 exec, exec, s[2:3]
	v_mad_u64_u32 v[14:15], s[2:3], v4, s24, 0
	s_load_dwordx2 s[2:3], s[18:19], 0x0
	s_add_u32 s22, s22, 1
	v_mul_lo_u32 v1, v5, s24
	v_mul_lo_u32 v7, v4, s25
	s_load_dwordx2 s[24:25], s[16:17], 0x0
	s_addc_u32 s23, s23, 0
	v_add3_u32 v1, v15, v7, v1
	v_sub_co_u32_e32 v7, vcc, v12, v14
	s_add_u32 s16, s16, 8
	s_nop 0
	v_subb_co_u32_e32 v1, vcc, v13, v1, vcc
	s_addc_u32 s17, s17, 0
	s_waitcnt lgkmcnt(0)
	v_mul_lo_u32 v11, s2, v1
	v_mul_lo_u32 v12, s3, v7
	v_mad_u64_u32 v[8:9], s[2:3], s2, v7, v[8:9]
	s_add_u32 s18, s18, 8
	v_add3_u32 v9, v12, v9, v11
	s_addc_u32 s19, s19, 0
	v_mov_b64_e32 v[12:13], s[10:11]
	v_mul_lo_u32 v1, s24, v1
	v_mul_lo_u32 v11, s25, v7
	v_mad_u64_u32 v[2:3], s[2:3], s24, v7, v[2:3]
	s_add_u32 s20, s20, 8
	v_cmp_ge_u64_e32 vcc, s[22:23], v[12:13]
	v_add3_u32 v3, v11, v3, v1
	s_addc_u32 s21, s21, 0
	s_cbranch_vccnz .LBB0_8
; %bb.7:                                ;   in Loop: Header=BB0_2 Depth=1
	v_mov_b64_e32 v[12:13], v[4:5]
	s_branch .LBB0_2
.LBB0_8:
	s_lshl_b64 s[16:17], s[10:11], 3
	s_mov_b32 s10, 0x24924925
	v_mul_hi_u32 v1, v6, s10
	s_load_dwordx2 s[0:1], s[0:1], 0x28
	v_sub_u32_e32 v7, v6, v1
	v_lshrrev_b32_e32 v7, 1, v7
	v_add_u32_e32 v1, v7, v1
	v_lshrrev_b32_e32 v1, 2, v1
	s_add_u32 s2, s14, s16
	v_mul_lo_u32 v1, v1, 7
	s_addc_u32 s3, s15, s17
	v_sub_u32_e32 v1, v6, v1
	s_waitcnt lgkmcnt(0)
	v_cmp_gt_u64_e32 vcc, s[0:1], v[4:5]
	v_cmp_le_u64_e64 s[0:1], s[0:1], v[4:5]
                                        ; implicit-def: $vgpr6
	s_and_saveexec_b64 s[10:11], s[0:1]
	s_xor_b64 s[0:1], exec, s[10:11]
; %bb.9:
	s_mov_b32 s10, 0x1c71c71d
	v_mul_hi_u32 v6, v0, s10
	v_mul_u32_u24_e32 v6, 9, v6
	v_sub_u32_e32 v6, v0, v6
                                        ; implicit-def: $vgpr0
                                        ; implicit-def: $vgpr8_vgpr9
; %bb.10:
	s_or_saveexec_b64 s[10:11], s[0:1]
	s_load_dwordx2 s[2:3], s[2:3], 0x0
	v_mul_u32_u24_e32 v7, 0x49, v1
	v_lshlrev_b32_e32 v15, 2, v7
	s_xor_b64 exec, exec, s[10:11]
	s_cbranch_execz .LBB0_14
; %bb.11:
	s_add_u32 s0, s12, s16
	s_addc_u32 s1, s13, s17
	s_load_dwordx2 s[0:1], s[0:1], 0x0
	s_mov_b32 s12, 0x1c71c71d
	s_waitcnt lgkmcnt(0)
	v_mul_lo_u32 v1, s1, v4
	v_mul_lo_u32 v6, s0, v5
	v_mad_u64_u32 v[10:11], s[0:1], s0, v4, 0
	v_add3_u32 v11, v11, v6, v1
	v_mul_hi_u32 v1, v0, s12
	v_mul_u32_u24_e32 v1, 9, v1
	v_sub_u32_e32 v6, v0, v1
	v_lshl_add_u64 v[0:1], v[10:11], 2, s[4:5]
	v_lshl_add_u64 v[0:1], v[8:9], 2, v[0:1]
	v_lshlrev_b32_e32 v8, 2, v6
	v_mov_b32_e32 v9, 0
	v_lshl_add_u64 v[10:11], v[0:1], 0, v[8:9]
	global_load_dword v9, v[10:11], off
	global_load_dword v12, v[10:11], off offset:36
	global_load_dword v13, v[10:11], off offset:72
	;; [unrolled: 1-line block ×7, first 2 shown]
	v_add3_u32 v8, 0, v15, v8
	v_cmp_eq_u32_e64 s[0:1], 8, v6
	s_waitcnt vmcnt(6)
	ds_write2_b32 v8, v9, v12 offset1:9
	s_waitcnt vmcnt(4)
	ds_write2_b32 v8, v13, v14 offset0:18 offset1:27
	s_waitcnt vmcnt(2)
	ds_write2_b32 v8, v16, v17 offset0:36 offset1:45
	;; [unrolled: 2-line block ×3, first 2 shown]
	s_and_saveexec_b64 s[4:5], s[0:1]
	s_cbranch_execz .LBB0_13
; %bb.12:
	global_load_dword v0, v[0:1], off offset:288
	v_mov_b32_e32 v6, 8
	s_waitcnt vmcnt(0)
	ds_write_b32 v8, v0 offset:256
.LBB0_13:
	s_or_b64 exec, exec, s[4:5]
.LBB0_14:
	s_or_b64 exec, exec, s[10:11]
	v_lshl_add_u32 v14, v7, 2, 0
	v_lshlrev_b32_e32 v0, 2, v6
	v_add_u32_e32 v16, v14, v0
	s_waitcnt lgkmcnt(0)
	; wave barrier
	s_waitcnt lgkmcnt(0)
	v_sub_u32_e32 v8, v14, v0
	ds_read_u16 v0, v16
	ds_read_u16 v1, v8 offset:288
	v_cmp_ne_u32_e64 s[0:1], 0, v6
	s_waitcnt lgkmcnt(0)
	v_add_f16_e32 v10, v1, v0
	v_sub_f16_e32 v9, v0, v1
                                        ; implicit-def: $vgpr0_vgpr1
	s_and_saveexec_b64 s[4:5], s[0:1]
	s_xor_b64 s[0:1], exec, s[4:5]
	s_cbranch_execz .LBB0_16
; %bb.15:
	v_mov_b32_e32 v7, 0
	v_lshl_add_u64 v[0:1], v[6:7], 2, s[8:9]
	global_load_dword v0, v[0:1], off offset:256
	ds_read_u16 v1, v8 offset:290
	ds_read_u16 v11, v16 offset:2
	s_waitcnt lgkmcnt(0)
	v_add_f16_e32 v12, v1, v11
	v_sub_f16_e32 v1, v11, v1
	s_waitcnt vmcnt(0)
	v_lshrrev_b32_e32 v11, 16, v0
	v_fma_f16 v13, v9, v11, v10
	v_fma_f16 v17, v12, v11, v1
	v_fma_f16 v10, -v9, v11, v10
	v_fma_f16 v1, v12, v11, -v1
	v_fma_f16 v11, -v0, v12, v13
	v_fma_f16 v13, v9, v0, v17
	v_fma_f16 v10, v0, v12, v10
	;; [unrolled: 1-line block ×3, first 2 shown]
	v_pack_b32_f16 v1, v11, v13
	v_pack_b32_f16 v0, v10, v0
	ds_write_b32 v16, v1
	ds_write_b32 v8, v0 offset:288
	v_mov_b64_e32 v[0:1], v[6:7]
                                        ; implicit-def: $vgpr10
                                        ; implicit-def: $vgpr9
.LBB0_16:
	s_andn2_saveexec_b64 s[0:1], s[0:1]
	s_cbranch_execz .LBB0_18
; %bb.17:
	v_pack_b32_f16 v0, v10, v9
	ds_write_b32 v16, v0
	ds_read_b32 v0, v14 offset:144
	s_mov_b32 s4, 0xc0004000
	s_waitcnt lgkmcnt(0)
	v_pk_mul_f16 v0, v0, s4
	ds_write_b32 v14, v0 offset:144
	v_mov_b64_e32 v[0:1], 0
.LBB0_18:
	s_or_b64 exec, exec, s[0:1]
	s_add_u32 s0, s8, 0x100
	s_addc_u32 s1, s9, 0
	v_lshl_add_u64 v[0:1], v[0:1], 2, s[0:1]
	global_load_dword v7, v[0:1], off offset:36
	global_load_dword v9, v[0:1], off offset:72
	;; [unrolled: 1-line block ×3, first 2 shown]
	v_xor_b32_e32 v0, 63, v6
	v_lshl_add_u32 v0, v0, 2, v14
	ds_read_b32 v1, v16 offset:36
	ds_read_b32 v11, v0
	s_mov_b32 s0, 0xffff
	s_movk_i32 s1, 0x39a8
	s_waitcnt lgkmcnt(0)
	v_add_f16_e32 v12, v1, v11
	v_add_f16_sdwa v13, v11, v1 dst_sel:DWORD dst_unused:UNUSED_PAD src0_sel:WORD_1 src1_sel:WORD_1
	v_sub_f16_e32 v17, v1, v11
	v_sub_f16_sdwa v1, v1, v11 dst_sel:DWORD dst_unused:UNUSED_PAD src0_sel:WORD_1 src1_sel:WORD_1
	s_waitcnt vmcnt(2)
	v_lshrrev_b32_e32 v11, 16, v7
	v_fma_f16 v18, v17, v11, v12
	v_fma_f16 v19, v13, v11, v1
	v_fma_f16 v12, -v17, v11, v12
	v_fma_f16 v1, v13, v11, -v1
	v_fma_f16 v11, -v7, v13, v18
	v_fma_f16 v18, v17, v7, v19
	v_fma_f16 v12, v7, v13, v12
	;; [unrolled: 1-line block ×3, first 2 shown]
	v_pack_b32_f16 v7, v11, v18
	v_pack_b32_f16 v1, v12, v1
	ds_write_b32 v16, v7 offset:36
	ds_write_b32 v0, v1
	ds_read_b32 v0, v16 offset:72
	ds_read_b32 v1, v8 offset:216
	s_waitcnt vmcnt(1)
	v_lshrrev_b32_e32 v7, 16, v9
	v_lshl_add_u32 v11, v6, 2, 0
	s_waitcnt lgkmcnt(0)
	v_add_f16_e32 v12, v0, v1
	v_add_f16_sdwa v13, v1, v0 dst_sel:DWORD dst_unused:UNUSED_PAD src0_sel:WORD_1 src1_sel:WORD_1
	v_sub_f16_e32 v17, v0, v1
	v_sub_f16_sdwa v0, v0, v1 dst_sel:DWORD dst_unused:UNUSED_PAD src0_sel:WORD_1 src1_sel:WORD_1
	v_fma_f16 v1, v17, v7, v12
	v_fma_f16 v18, v13, v7, v0
	v_fma_f16 v12, -v17, v7, v12
	v_fma_f16 v0, v13, v7, -v0
	v_fma_f16 v1, -v9, v13, v1
	v_fma_f16 v7, v17, v9, v18
	v_fma_f16 v12, v9, v13, v12
	;; [unrolled: 1-line block ×3, first 2 shown]
	v_pack_b32_f16 v1, v1, v7
	v_pack_b32_f16 v0, v12, v0
	ds_write_b32 v16, v1 offset:72
	ds_write_b32 v8, v0 offset:216
	ds_read_b32 v0, v16 offset:108
	ds_read_b32 v1, v8 offset:180
	v_add_u32_e32 v7, v11, v15
	v_mad_u32_u24 v17, v6, 28, v11
	s_waitcnt vmcnt(0)
	v_lshrrev_b32_e32 v9, 16, v10
	v_add_u32_e32 v12, v17, v15
	s_waitcnt lgkmcnt(0)
	v_add_f16_e32 v11, v0, v1
	v_add_f16_sdwa v13, v1, v0 dst_sel:DWORD dst_unused:UNUSED_PAD src0_sel:WORD_1 src1_sel:WORD_1
	v_sub_f16_e32 v18, v0, v1
	v_sub_f16_sdwa v0, v0, v1 dst_sel:DWORD dst_unused:UNUSED_PAD src0_sel:WORD_1 src1_sel:WORD_1
	v_fma_f16 v1, v18, v9, v11
	v_fma_f16 v19, v13, v9, v0
	v_fma_f16 v11, -v18, v9, v11
	v_fma_f16 v0, v13, v9, -v0
	v_fma_f16 v1, -v10, v13, v1
	v_fma_f16 v9, v18, v10, v19
	v_fma_f16 v11, v10, v13, v11
	;; [unrolled: 1-line block ×3, first 2 shown]
	v_pack_b32_f16 v1, v1, v9
	v_pack_b32_f16 v0, v11, v0
	ds_write_b32 v16, v1 offset:108
	ds_write_b32 v8, v0 offset:180
	s_waitcnt lgkmcnt(0)
	; wave barrier
	s_waitcnt lgkmcnt(0)
	s_waitcnt lgkmcnt(0)
	; wave barrier
	s_waitcnt lgkmcnt(0)
	ds_read2_b32 v[0:1], v7 offset0:9 offset1:18
	ds_read2_b32 v[8:9], v7 offset0:27 offset1:36
	ds_read_b32 v13, v16
	ds_read2_b32 v[10:11], v7 offset0:45 offset1:54
	ds_read_b32 v18, v7 offset:252
	s_waitcnt lgkmcnt(0)
	; wave barrier
	s_waitcnt lgkmcnt(0)
	v_pk_add_f16 v9, v13, v9 neg_lo:[0,1] neg_hi:[0,1]
	v_pk_add_f16 v11, v1, v11 neg_lo:[0,1] neg_hi:[0,1]
	;; [unrolled: 1-line block ×4, first 2 shown]
	v_pk_fma_f16 v13, v13, 2.0, v9 op_sel_hi:[1,0,1] neg_lo:[0,0,1] neg_hi:[0,0,1]
	v_pk_fma_f16 v1, v1, 2.0, v11 op_sel_hi:[1,0,1] neg_lo:[0,0,1] neg_hi:[0,0,1]
	;; [unrolled: 1-line block ×4, first 2 shown]
	v_pk_add_f16 v19, v9, v11 op_sel:[0,1] op_sel_hi:[1,0]
	v_pk_add_f16 v11, v9, v11 op_sel:[0,1] op_sel_hi:[1,0] neg_lo:[0,1] neg_hi:[0,1]
	v_pk_add_f16 v20, v10, v18 op_sel:[0,1] op_sel_hi:[1,0]
	v_pk_add_f16 v18, v10, v18 op_sel:[0,1] op_sel_hi:[1,0] neg_lo:[0,1] neg_hi:[0,1]
	v_pk_add_f16 v1, v13, v1 neg_lo:[0,1] neg_hi:[0,1]
	v_pk_add_f16 v8, v0, v8 neg_lo:[0,1] neg_hi:[0,1]
	v_bfi_b32 v21, s0, v19, v11
	v_bfi_b32 v18, s0, v20, v18
	v_pk_add_f16 v20, v1, v8 op_sel:[0,1] op_sel_hi:[1,0]
	v_pk_add_f16 v22, v1, v8 op_sel:[0,1] op_sel_hi:[1,0] neg_lo:[0,1] neg_hi:[0,1]
	v_pk_fma_f16 v13, v13, 2.0, v1 op_sel_hi:[1,0,1] neg_lo:[0,0,1] neg_hi:[0,0,1]
	v_pk_fma_f16 v0, v0, 2.0, v8 op_sel_hi:[1,0,1] neg_lo:[0,0,1] neg_hi:[0,0,1]
	;; [unrolled: 1-line block ×4, first 2 shown]
	v_pk_mul_f16 v10, v18, s1 op_sel_hi:[1,0]
	v_pk_fma_f16 v18, v18, s1, v21 op_sel_hi:[1,0,1]
	v_bfi_b32 v8, s0, v20, v22
	v_pk_add_f16 v0, v13, v0 neg_lo:[0,1] neg_hi:[0,1]
	v_pk_mul_f16 v20, v9, s1 op_sel_hi:[1,0]
	v_pk_fma_f16 v21, v9, s1, v23 op_sel_hi:[1,0,1] neg_lo:[1,0,0] neg_hi:[1,0,0]
	v_pk_add_f16 v9, v18, v10 op_sel:[0,1] op_sel_hi:[1,0]
	v_pk_add_f16 v18, v18, v10 op_sel:[0,1] op_sel_hi:[1,0] neg_lo:[0,1] neg_hi:[0,1]
	v_pk_fma_f16 v10, v13, 2.0, v0 op_sel_hi:[1,0,1] neg_lo:[0,0,1] neg_hi:[0,0,1]
	v_pk_add_f16 v13, v21, v20 op_sel:[0,1] op_sel_hi:[1,0]
	v_pk_add_f16 v20, v21, v20 op_sel:[0,1] op_sel_hi:[1,0] neg_lo:[0,1] neg_hi:[0,1]
	v_lshrrev_b32_e32 v11, 16, v11
	v_bfi_b32 v13, s0, v13, v20
	v_pk_fma_f16 v1, v1, 2.0, v8 op_sel_hi:[1,0,1] neg_lo:[0,0,1] neg_hi:[0,0,1]
	v_pk_fma_f16 v20, v23, 2.0, v13 op_sel_hi:[1,0,1] neg_lo:[0,0,1] neg_hi:[0,0,1]
	ds_write2_b32 v12, v13, v8 offset0:5 offset1:6
	ds_write2_b32 v12, v20, v1 offset0:1 offset1:2
	v_fma_f16 v13, v19, 2.0, -v9
	v_lshrrev_b32_e32 v19, 16, v18
	v_fma_f16 v11, v11, 2.0, -v19
	v_bfi_b32 v1, s0, v9, v18
	v_pack_b32_f16 v11, v13, v11
	ds_write2_b32 v12, v11, v0 offset0:3 offset1:4
	ds_write2_b32 v12, v10, v1 offset1:7
	s_waitcnt lgkmcnt(0)
	; wave barrier
	s_waitcnt lgkmcnt(0)
	ds_read2_b32 v[0:1], v7 offset0:9 offset1:24
	ds_read2_b32 v[10:11], v7 offset0:33 offset1:48
	ds_read_b32 v13, v16
	ds_read_u16 v12, v16 offset:2
	ds_read_b32 v20, v7 offset:228
	v_cmp_gt_u32_e64 s[0:1], 6, v6
                                        ; implicit-def: $vgpr21
	s_nop 1
	v_alignbit_b32 v22, s0, v18, 16
	s_and_saveexec_b64 s[4:5], s[0:1]
	s_cbranch_execz .LBB0_20
; %bb.19:
	ds_read2_b32 v[8:9], v7 offset0:18 offset1:42
	ds_read_b32 v21, v7 offset:264
	s_mov_b32 s10, 0x7060302
	s_waitcnt lgkmcnt(0)
	v_perm_b32 v22, v21, v9, s10
.LBB0_20:
	s_or_b64 exec, exec, s[4:5]
	v_and_b32_e32 v25, 7, v6
	v_add_u32_e32 v19, 9, v6
	v_lshlrev_b32_e32 v18, 3, v25
	v_and_b32_e32 v32, 7, v19
	global_load_dwordx2 v[26:27], v18, s[8:9]
	v_lshlrev_b32_e32 v18, 3, v32
	global_load_dwordx2 v[28:29], v18, s[8:9]
	v_add_u32_e32 v18, 18, v6
	v_and_b32_e32 v24, 7, v18
	v_lshlrev_b32_e32 v23, 3, v24
	global_load_dwordx2 v[30:31], v23, s[8:9]
	s_waitcnt lgkmcnt(4)
	v_lshrrev_b32_e32 v33, 16, v1
	s_waitcnt lgkmcnt(3)
	v_lshrrev_b32_e32 v34, 16, v11
	v_lshrrev_b32_e32 v35, 16, v10
	s_waitcnt lgkmcnt(0)
	v_lshrrev_b32_e32 v36, 16, v20
	v_lshrrev_b32_e32 v37, 16, v22
	s_mov_b32 s4, 0xbaee
	s_movk_i32 s5, 0x3aee
	v_lshrrev_b32_e32 v38, 16, v8
	v_lshrrev_b32_e32 v23, 16, v0
	s_waitcnt lgkmcnt(0)
	; wave barrier
	s_waitcnt vmcnt(2)
	v_mul_f16_sdwa v39, v26, v33 dst_sel:DWORD dst_unused:UNUSED_PAD src0_sel:WORD_1 src1_sel:DWORD
	v_mul_f16_sdwa v40, v26, v1 dst_sel:DWORD dst_unused:UNUSED_PAD src0_sel:WORD_1 src1_sel:DWORD
	;; [unrolled: 1-line block ×4, first 2 shown]
	v_fma_f16 v1, v26, v1, v39
	v_fma_f16 v26, v26, v33, -v40
	v_fma_f16 v11, v27, v11, v41
	v_fma_f16 v27, v27, v34, -v42
	s_waitcnt vmcnt(1)
	v_mul_f16_sdwa v33, v28, v35 dst_sel:DWORD dst_unused:UNUSED_PAD src0_sel:WORD_1 src1_sel:DWORD
	v_mul_f16_sdwa v34, v28, v10 dst_sel:DWORD dst_unused:UNUSED_PAD src0_sel:WORD_1 src1_sel:DWORD
	;; [unrolled: 1-line block ×3, first 2 shown]
	s_waitcnt vmcnt(0)
	v_mul_f16_sdwa v41, v22, v30 dst_sel:DWORD dst_unused:UNUSED_PAD src0_sel:DWORD src1_sel:WORD_1
	v_mul_f16_sdwa v42, v9, v30 dst_sel:DWORD dst_unused:UNUSED_PAD src0_sel:DWORD src1_sel:WORD_1
	;; [unrolled: 1-line block ×4, first 2 shown]
	v_mul_f16_sdwa v40, v29, v20 dst_sel:DWORD dst_unused:UNUSED_PAD src0_sel:WORD_1 src1_sel:DWORD
	v_fma_f16 v10, v28, v10, v33
	v_fma_f16 v28, v28, v35, -v34
	v_fma_f16 v20, v29, v20, v39
	v_fma_f16 v9, v9, v30, v41
	v_fma_f16 v22, v22, v30, -v42
	v_fma_f16 v21, v21, v31, v43
	v_fma_f16 v30, v37, v31, -v44
	v_add_f16_e32 v31, v1, v13
	v_add_f16_e32 v33, v1, v11
	v_sub_f16_e32 v34, v26, v27
	v_add_f16_e32 v35, v12, v26
	v_add_f16_e32 v26, v26, v27
	v_fma_f16 v29, v29, v36, -v40
	v_sub_f16_e32 v1, v1, v11
	v_add_f16_e32 v11, v31, v11
	v_fma_f16 v13, v33, -0.5, v13
	v_fma_f16 v12, v26, -0.5, v12
	v_add_f16_e32 v31, v10, v20
	v_add_f16_e32 v37, v9, v21
	;; [unrolled: 1-line block ×3, first 2 shown]
	v_sub_f16_e32 v33, v28, v29
	v_add_f16_e32 v36, v8, v9
	v_sub_f16_e32 v39, v22, v30
	v_add_f16_e32 v40, v38, v22
	v_fma_f16 v41, v34, s4, v13
	v_fma_f16 v13, v34, s5, v13
	;; [unrolled: 1-line block ×4, first 2 shown]
	v_fma_f16 v1, v31, -0.5, v0
	v_fma_f16 v8, v37, -0.5, v8
	v_sub_f16_e32 v10, v10, v20
	v_add_f16_e32 v22, v22, v30
	v_sub_f16_e32 v9, v9, v21
	v_add_f16_e32 v26, v26, v20
	v_add_f16_e32 v0, v36, v21
	;; [unrolled: 1-line block ×3, first 2 shown]
	v_fma_f16 v30, v33, s4, v1
	v_fma_f16 v31, v33, s5, v1
	;; [unrolled: 1-line block ×4, first 2 shown]
	v_lshrrev_b32_e32 v8, 3, v6
	v_mul_u32_u24_e32 v8, 24, v8
	v_add_f16_e32 v27, v35, v27
	v_add_f16_e32 v35, v23, v28
	;; [unrolled: 1-line block ×3, first 2 shown]
	v_or_b32_e32 v8, v8, v25
	v_fma_f16 v23, v28, -0.5, v23
	v_fma_f16 v28, v22, -0.5, v38
	v_lshlrev_b32_e32 v8, 2, v8
	v_fma_f16 v33, v10, s5, v23
	v_fma_f16 v10, v10, s4, v23
	;; [unrolled: 1-line block ×4, first 2 shown]
	v_add3_u32 v8, 0, v8, v15
	v_pack_b32_f16 v9, v11, v27
	v_pack_b32_f16 v11, v41, v34
	ds_write2_b32 v8, v9, v11 offset1:8
	v_pack_b32_f16 v9, v13, v12
	ds_write_b32 v8, v9 offset:64
	v_lshrrev_b32_e32 v8, 3, v19
	v_mul_u32_u24_e32 v8, 24, v8
	v_or_b32_e32 v8, v8, v32
	v_add_f16_e32 v29, v35, v29
	v_lshlrev_b32_e32 v8, 2, v8
	v_add3_u32 v8, 0, v8, v15
	v_pack_b32_f16 v9, v26, v29
	v_pack_b32_f16 v11, v30, v33
	ds_write2_b32 v8, v9, v11 offset1:8
	v_pack_b32_f16 v9, v31, v10
	ds_write_b32 v8, v9 offset:64
	s_and_saveexec_b64 s[4:5], s[0:1]
	s_cbranch_execz .LBB0_22
; %bb.21:
	v_lshlrev_b32_e32 v8, 2, v24
	s_mov_b32 s10, 0x5040100
	v_add3_u32 v8, 0, v8, v15
	v_perm_b32 v9, v20, v0, s10
	ds_write_b32 v8, v9 offset:192
	v_mov_b32_e32 v9, 0xe0
	v_lshl_or_b32 v9, v18, 2, v9
	v_add3_u32 v9, 0, v9, v15
	v_perm_b32 v10, v22, v1, s10
	ds_write_b32 v9, v10
	v_perm_b32 v9, v23, v21, s10
	ds_write_b32 v8, v9 offset:256
.LBB0_22:
	s_or_b64 exec, exec, s[4:5]
	s_waitcnt lgkmcnt(0)
	; wave barrier
	s_waitcnt lgkmcnt(0)
	ds_read2_b32 v[8:9], v7 offset0:9 offset1:24
	ds_read2_b32 v[12:13], v7 offset0:33 offset1:48
	ds_read_b32 v16, v16
	ds_read_b32 v24, v7 offset:228
	s_and_saveexec_b64 s[4:5], s[0:1]
	s_cbranch_execz .LBB0_24
; %bb.23:
	ds_read2_b32 v[0:1], v7 offset0:18 offset1:42
	ds_read_b32 v21, v7 offset:264
	s_waitcnt lgkmcnt(1)
	v_lshrrev_b32_e32 v20, 16, v0
	v_lshrrev_b32_e32 v22, 16, v1
	s_waitcnt lgkmcnt(0)
	v_lshrrev_b32_e32 v23, 16, v21
.LBB0_24:
	s_or_b64 exec, exec, s[4:5]
	v_lshlrev_b32_e32 v10, 1, v6
	v_mov_b32_e32 v11, 0
	v_lshl_add_u64 v[26:27], v[10:11], 2, s[8:9]
	v_lshlrev_b32_e32 v10, 1, v19
	global_load_dwordx2 v[26:27], v[26:27], off offset:64
	v_lshl_add_u64 v[28:29], v[10:11], 2, s[8:9]
	global_load_dwordx2 v[28:29], v[28:29], off offset:64
	v_mul_i32_i24_e32 v19, 0xffffffe4, v6
	s_waitcnt lgkmcnt(2)
	v_lshrrev_b32_e32 v32, 16, v13
	v_lshrrev_b32_e32 v33, 16, v9
	s_waitcnt lgkmcnt(0)
	v_lshrrev_b32_e32 v30, 16, v24
	v_lshrrev_b32_e32 v31, 16, v12
	v_add3_u32 v15, v17, v19, v15
	v_lshrrev_b32_e32 v25, 16, v16
	v_lshrrev_b32_e32 v10, 16, v8
	s_mov_b32 s10, 0xbaee
	s_movk_i32 s11, 0x3aee
	s_waitcnt lgkmcnt(0)
	; wave barrier
	s_waitcnt vmcnt(1)
	v_mul_f16_sdwa v17, v26, v33 dst_sel:DWORD dst_unused:UNUSED_PAD src0_sel:WORD_1 src1_sel:DWORD
	v_mul_f16_sdwa v19, v26, v9 dst_sel:DWORD dst_unused:UNUSED_PAD src0_sel:WORD_1 src1_sel:DWORD
	;; [unrolled: 1-line block ×4, first 2 shown]
	v_fma_f16 v9, v26, v9, v17
	v_fma_f16 v17, v26, v33, -v19
	v_fma_f16 v13, v27, v13, v34
	v_fma_f16 v19, v27, v32, -v35
	s_waitcnt vmcnt(0)
	v_mul_f16_sdwa v26, v28, v31 dst_sel:DWORD dst_unused:UNUSED_PAD src0_sel:WORD_1 src1_sel:DWORD
	v_mul_f16_sdwa v27, v28, v12 dst_sel:DWORD dst_unused:UNUSED_PAD src0_sel:WORD_1 src1_sel:DWORD
	;; [unrolled: 1-line block ×4, first 2 shown]
	v_fma_f16 v12, v28, v12, v26
	v_fma_f16 v26, v28, v31, -v27
	v_fma_f16 v24, v29, v24, v32
	v_fma_f16 v27, v29, v30, -v33
	v_add_f16_e32 v29, v9, v13
	v_sub_f16_e32 v30, v17, v19
	v_add_f16_e32 v31, v17, v25
	v_add_f16_e32 v17, v17, v19
	v_add_f16_e32 v28, v9, v16
	v_sub_f16_e32 v9, v9, v13
	v_fma_f16 v16, v29, -0.5, v16
	v_add_f16_e32 v19, v31, v19
	v_fma_f16 v17, v17, -0.5, v25
	v_sub_f16_e32 v29, v26, v27
	v_add_f16_e32 v31, v10, v26
	v_add_f16_e32 v26, v26, v27
	;; [unrolled: 1-line block ×5, first 2 shown]
	v_sub_f16_e32 v12, v12, v24
	v_fma_f16 v32, v30, s10, v16
	v_fma_f16 v16, v30, s11, v16
	;; [unrolled: 1-line block ×4, first 2 shown]
	v_fma_f16 v10, v26, -0.5, v10
	v_add_f16_e32 v17, v25, v24
	v_fma_f16 v8, v28, -0.5, v8
	v_add_f16_e32 v24, v31, v27
	v_fma_f16 v25, v12, s11, v10
	v_fma_f16 v10, v12, s10, v10
	v_pack_b32_f16 v12, v32, v30
	v_pack_b32_f16 v9, v16, v9
	;; [unrolled: 1-line block ×3, first 2 shown]
	v_fma_f16 v19, v29, s10, v8
	v_fma_f16 v8, v29, s11, v8
	v_pack_b32_f16 v16, v17, v24
	ds_write2_b32 v7, v12, v9 offset0:24 offset1:48
	ds_write2_b32 v7, v13, v16 offset1:9
	ds_write_b16 v15, v19 offset:132
	ds_write_b16 v15, v25 offset:134
	;; [unrolled: 1-line block ×4, first 2 shown]
	s_and_saveexec_b64 s[4:5], s[0:1]
	s_cbranch_execz .LBB0_26
; %bb.25:
	v_add_u32_e32 v8, -6, v6
	v_cndmask_b32_e64 v8, v8, v18, s[0:1]
	v_lshlrev_b32_e32 v10, 1, v8
	v_lshl_add_u64 v[8:9], v[10:11], 2, s[8:9]
	global_load_dwordx2 v[8:9], v[8:9], off offset:64
	s_waitcnt vmcnt(0)
	v_mul_f16_sdwa v10, v22, v8 dst_sel:DWORD dst_unused:UNUSED_PAD src0_sel:DWORD src1_sel:WORD_1
	v_mul_f16_sdwa v11, v23, v9 dst_sel:DWORD dst_unused:UNUSED_PAD src0_sel:DWORD src1_sel:WORD_1
	v_mul_f16_sdwa v12, v1, v8 dst_sel:DWORD dst_unused:UNUSED_PAD src0_sel:DWORD src1_sel:WORD_1
	v_mul_f16_sdwa v13, v21, v9 dst_sel:DWORD dst_unused:UNUSED_PAD src0_sel:DWORD src1_sel:WORD_1
	v_fma_f16 v1, v1, v8, v10
	v_fma_f16 v10, v21, v9, v11
	v_fma_f16 v8, v22, v8, -v12
	v_fma_f16 v9, v23, v9, -v13
	v_add_f16_e32 v12, v8, v9
	v_add_f16_e32 v13, v1, v10
	v_sub_f16_e32 v11, v1, v10
	v_sub_f16_e32 v15, v8, v9
	v_add_f16_e32 v8, v20, v8
	v_add_f16_e32 v1, v0, v1
	v_fma_f16 v12, v12, -0.5, v20
	v_fma_f16 v0, v13, -0.5, v0
	v_add_f16_e32 v8, v8, v9
	v_add_f16_e32 v1, v1, v10
	v_fma_f16 v9, v11, s11, v12
	v_fma_f16 v10, v15, s10, v0
	;; [unrolled: 1-line block ×4, first 2 shown]
	v_pack_b32_f16 v1, v1, v8
	v_pack_b32_f16 v8, v10, v9
	;; [unrolled: 1-line block ×3, first 2 shown]
	ds_write2_b32 v7, v1, v8 offset0:18 offset1:42
	ds_write_b32 v7, v0 offset:264
.LBB0_26:
	s_or_b64 exec, exec, s[4:5]
	s_waitcnt lgkmcnt(0)
	; wave barrier
	s_waitcnt lgkmcnt(0)
	s_and_saveexec_b64 s[0:1], vcc
	s_cbranch_execz .LBB0_28
; %bb.27:
	v_mul_lo_u32 v7, s3, v4
	v_mul_lo_u32 v5, s2, v5
	v_mad_u64_u32 v[0:1], s[0:1], s2, v4, 0
	v_lshl_add_u32 v10, v6, 2, v14
	v_add3_u32 v1, v1, v5, v7
	ds_read2_b32 v[4:5], v10 offset1:9
	v_lshl_add_u64 v[0:1], v[0:1], 2, s[6:7]
	v_mov_b32_e32 v7, 0
	v_lshl_add_u64 v[0:1], v[2:3], 2, v[0:1]
	v_lshl_add_u64 v[2:3], v[6:7], 2, v[0:1]
	ds_read2_b32 v[8:9], v10 offset0:18 offset1:27
	s_waitcnt lgkmcnt(1)
	global_store_dword v[2:3], v4, off
	v_add_u32_e32 v2, 9, v6
	v_mov_b32_e32 v3, v7
	v_lshl_add_u64 v[2:3], v[2:3], 2, v[0:1]
	global_store_dword v[2:3], v5, off
	v_add_u32_e32 v2, 18, v6
	v_mov_b32_e32 v3, v7
	v_lshl_add_u64 v[2:3], v[2:3], 2, v[0:1]
	ds_read2_b32 v[4:5], v10 offset0:36 offset1:45
	s_waitcnt lgkmcnt(1)
	global_store_dword v[2:3], v8, off
	v_add_u32_e32 v2, 27, v6
	v_mov_b32_e32 v3, v7
	v_lshl_add_u64 v[2:3], v[2:3], 2, v[0:1]
	global_store_dword v[2:3], v9, off
	v_add_u32_e32 v2, 36, v6
	v_mov_b32_e32 v3, v7
	;; [unrolled: 10-line block ×3, first 2 shown]
	v_add_u32_e32 v6, 63, v6
	v_lshl_add_u64 v[2:3], v[2:3], 2, v[0:1]
	v_lshl_add_u64 v[0:1], v[6:7], 2, v[0:1]
	s_waitcnt lgkmcnt(0)
	global_store_dword v[2:3], v8, off
	global_store_dword v[0:1], v9, off
.LBB0_28:
	s_endpgm
	.section	.rodata,"a",@progbits
	.p2align	6, 0x0
	.amdhsa_kernel fft_rtc_back_len72_factors_8_3_3_wgs_63_tpt_9_halfLds_half_op_CI_CI_unitstride_sbrr_C2R_dirReg
		.amdhsa_group_segment_fixed_size 0
		.amdhsa_private_segment_fixed_size 0
		.amdhsa_kernarg_size 104
		.amdhsa_user_sgpr_count 2
		.amdhsa_user_sgpr_dispatch_ptr 0
		.amdhsa_user_sgpr_queue_ptr 0
		.amdhsa_user_sgpr_kernarg_segment_ptr 1
		.amdhsa_user_sgpr_dispatch_id 0
		.amdhsa_user_sgpr_kernarg_preload_length 0
		.amdhsa_user_sgpr_kernarg_preload_offset 0
		.amdhsa_user_sgpr_private_segment_size 0
		.amdhsa_uses_dynamic_stack 0
		.amdhsa_enable_private_segment 0
		.amdhsa_system_sgpr_workgroup_id_x 1
		.amdhsa_system_sgpr_workgroup_id_y 0
		.amdhsa_system_sgpr_workgroup_id_z 0
		.amdhsa_system_sgpr_workgroup_info 0
		.amdhsa_system_vgpr_workitem_id 0
		.amdhsa_next_free_vgpr 45
		.amdhsa_next_free_sgpr 28
		.amdhsa_accum_offset 48
		.amdhsa_reserve_vcc 1
		.amdhsa_float_round_mode_32 0
		.amdhsa_float_round_mode_16_64 0
		.amdhsa_float_denorm_mode_32 3
		.amdhsa_float_denorm_mode_16_64 3
		.amdhsa_dx10_clamp 1
		.amdhsa_ieee_mode 1
		.amdhsa_fp16_overflow 0
		.amdhsa_tg_split 0
		.amdhsa_exception_fp_ieee_invalid_op 0
		.amdhsa_exception_fp_denorm_src 0
		.amdhsa_exception_fp_ieee_div_zero 0
		.amdhsa_exception_fp_ieee_overflow 0
		.amdhsa_exception_fp_ieee_underflow 0
		.amdhsa_exception_fp_ieee_inexact 0
		.amdhsa_exception_int_div_zero 0
	.end_amdhsa_kernel
	.text
.Lfunc_end0:
	.size	fft_rtc_back_len72_factors_8_3_3_wgs_63_tpt_9_halfLds_half_op_CI_CI_unitstride_sbrr_C2R_dirReg, .Lfunc_end0-fft_rtc_back_len72_factors_8_3_3_wgs_63_tpt_9_halfLds_half_op_CI_CI_unitstride_sbrr_C2R_dirReg
                                        ; -- End function
	.section	.AMDGPU.csdata,"",@progbits
; Kernel info:
; codeLenInByte = 4852
; NumSgprs: 34
; NumVgprs: 45
; NumAgprs: 0
; TotalNumVgprs: 45
; ScratchSize: 0
; MemoryBound: 0
; FloatMode: 240
; IeeeMode: 1
; LDSByteSize: 0 bytes/workgroup (compile time only)
; SGPRBlocks: 4
; VGPRBlocks: 5
; NumSGPRsForWavesPerEU: 34
; NumVGPRsForWavesPerEU: 45
; AccumOffset: 48
; Occupancy: 8
; WaveLimiterHint : 1
; COMPUTE_PGM_RSRC2:SCRATCH_EN: 0
; COMPUTE_PGM_RSRC2:USER_SGPR: 2
; COMPUTE_PGM_RSRC2:TRAP_HANDLER: 0
; COMPUTE_PGM_RSRC2:TGID_X_EN: 1
; COMPUTE_PGM_RSRC2:TGID_Y_EN: 0
; COMPUTE_PGM_RSRC2:TGID_Z_EN: 0
; COMPUTE_PGM_RSRC2:TIDIG_COMP_CNT: 0
; COMPUTE_PGM_RSRC3_GFX90A:ACCUM_OFFSET: 11
; COMPUTE_PGM_RSRC3_GFX90A:TG_SPLIT: 0
	.text
	.p2alignl 6, 3212836864
	.fill 256, 4, 3212836864
	.type	__hip_cuid_f21e59f258b49eff,@object ; @__hip_cuid_f21e59f258b49eff
	.section	.bss,"aw",@nobits
	.globl	__hip_cuid_f21e59f258b49eff
__hip_cuid_f21e59f258b49eff:
	.byte	0                               ; 0x0
	.size	__hip_cuid_f21e59f258b49eff, 1

	.ident	"AMD clang version 19.0.0git (https://github.com/RadeonOpenCompute/llvm-project roc-6.4.0 25133 c7fe45cf4b819c5991fe208aaa96edf142730f1d)"
	.section	".note.GNU-stack","",@progbits
	.addrsig
	.addrsig_sym __hip_cuid_f21e59f258b49eff
	.amdgpu_metadata
---
amdhsa.kernels:
  - .agpr_count:     0
    .args:
      - .actual_access:  read_only
        .address_space:  global
        .offset:         0
        .size:           8
        .value_kind:     global_buffer
      - .offset:         8
        .size:           8
        .value_kind:     by_value
      - .actual_access:  read_only
        .address_space:  global
        .offset:         16
        .size:           8
        .value_kind:     global_buffer
      - .actual_access:  read_only
        .address_space:  global
        .offset:         24
        .size:           8
        .value_kind:     global_buffer
      - .actual_access:  read_only
        .address_space:  global
        .offset:         32
        .size:           8
        .value_kind:     global_buffer
      - .offset:         40
        .size:           8
        .value_kind:     by_value
      - .actual_access:  read_only
        .address_space:  global
        .offset:         48
        .size:           8
        .value_kind:     global_buffer
      - .actual_access:  read_only
        .address_space:  global
        .offset:         56
        .size:           8
        .value_kind:     global_buffer
      - .offset:         64
        .size:           4
        .value_kind:     by_value
      - .actual_access:  read_only
        .address_space:  global
        .offset:         72
        .size:           8
        .value_kind:     global_buffer
      - .actual_access:  read_only
        .address_space:  global
        .offset:         80
        .size:           8
        .value_kind:     global_buffer
      - .actual_access:  read_only
        .address_space:  global
        .offset:         88
        .size:           8
        .value_kind:     global_buffer
      - .actual_access:  write_only
        .address_space:  global
        .offset:         96
        .size:           8
        .value_kind:     global_buffer
    .group_segment_fixed_size: 0
    .kernarg_segment_align: 8
    .kernarg_segment_size: 104
    .language:       OpenCL C
    .language_version:
      - 2
      - 0
    .max_flat_workgroup_size: 63
    .name:           fft_rtc_back_len72_factors_8_3_3_wgs_63_tpt_9_halfLds_half_op_CI_CI_unitstride_sbrr_C2R_dirReg
    .private_segment_fixed_size: 0
    .sgpr_count:     34
    .sgpr_spill_count: 0
    .symbol:         fft_rtc_back_len72_factors_8_3_3_wgs_63_tpt_9_halfLds_half_op_CI_CI_unitstride_sbrr_C2R_dirReg.kd
    .uniform_work_group_size: 1
    .uses_dynamic_stack: false
    .vgpr_count:     45
    .vgpr_spill_count: 0
    .wavefront_size: 64
amdhsa.target:   amdgcn-amd-amdhsa--gfx950
amdhsa.version:
  - 1
  - 2
...

	.end_amdgpu_metadata
